;; amdgpu-corpus repo=ROCm/rocFFT kind=compiled arch=gfx906 opt=O3
	.text
	.amdgcn_target "amdgcn-amd-amdhsa--gfx906"
	.amdhsa_code_object_version 6
	.protected	fft_rtc_fwd_len135_factors_5_3_3_3_wgs_126_tpt_9_halfLds_sp_ip_CI_sbrr_dirReg ; -- Begin function fft_rtc_fwd_len135_factors_5_3_3_3_wgs_126_tpt_9_halfLds_sp_ip_CI_sbrr_dirReg
	.globl	fft_rtc_fwd_len135_factors_5_3_3_3_wgs_126_tpt_9_halfLds_sp_ip_CI_sbrr_dirReg
	.p2align	8
	.type	fft_rtc_fwd_len135_factors_5_3_3_3_wgs_126_tpt_9_halfLds_sp_ip_CI_sbrr_dirReg,@function
fft_rtc_fwd_len135_factors_5_3_3_3_wgs_126_tpt_9_halfLds_sp_ip_CI_sbrr_dirReg: ; @fft_rtc_fwd_len135_factors_5_3_3_3_wgs_126_tpt_9_halfLds_sp_ip_CI_sbrr_dirReg
; %bb.0:
	s_load_dwordx2 s[14:15], s[4:5], 0x18
	s_load_dwordx4 s[8:11], s[4:5], 0x0
	s_load_dwordx2 s[12:13], s[4:5], 0x50
	v_mul_u32_u24_e32 v1, 0x1c72, v0
	v_lshrrev_b32_e32 v1, 16, v1
	s_waitcnt lgkmcnt(0)
	s_load_dwordx2 s[2:3], s[14:15], 0x0
	v_mad_u64_u32 v[2:3], s[0:1], s6, 14, v[1:2]
	v_mov_b32_e32 v6, 0
	v_cmp_lt_u64_e64 s[0:1], s[10:11], 2
	v_mov_b32_e32 v3, v6
	v_mov_b32_e32 v4, 0
	;; [unrolled: 1-line block ×3, first 2 shown]
	s_and_b64 vcc, exec, s[0:1]
	v_mov_b32_e32 v5, 0
	v_mov_b32_e32 v10, v2
	s_cbranch_vccnz .LBB0_8
; %bb.1:
	s_load_dwordx2 s[0:1], s[4:5], 0x10
	s_add_u32 s6, s14, 8
	s_addc_u32 s7, s15, 0
	v_mov_b32_e32 v4, 0
	v_mov_b32_e32 v9, v3
	s_waitcnt lgkmcnt(0)
	s_add_u32 s18, s0, 8
	s_mov_b64 s[16:17], 1
	v_mov_b32_e32 v5, 0
	s_addc_u32 s19, s1, 0
	v_mov_b32_e32 v8, v2
.LBB0_2:                                ; =>This Inner Loop Header: Depth=1
	s_load_dwordx2 s[20:21], s[18:19], 0x0
                                        ; implicit-def: $vgpr10_vgpr11
	s_waitcnt lgkmcnt(0)
	v_or_b32_e32 v7, s21, v9
	v_cmp_ne_u64_e32 vcc, 0, v[6:7]
	s_and_saveexec_b64 s[0:1], vcc
	s_xor_b64 s[22:23], exec, s[0:1]
	s_cbranch_execz .LBB0_4
; %bb.3:                                ;   in Loop: Header=BB0_2 Depth=1
	v_cvt_f32_u32_e32 v1, s20
	v_cvt_f32_u32_e32 v3, s21
	s_sub_u32 s0, 0, s20
	s_subb_u32 s1, 0, s21
	v_mac_f32_e32 v1, 0x4f800000, v3
	v_rcp_f32_e32 v1, v1
	v_mul_f32_e32 v1, 0x5f7ffffc, v1
	v_mul_f32_e32 v3, 0x2f800000, v1
	v_trunc_f32_e32 v3, v3
	v_mac_f32_e32 v1, 0xcf800000, v3
	v_cvt_u32_f32_e32 v3, v3
	v_cvt_u32_f32_e32 v1, v1
	v_mul_lo_u32 v7, s0, v3
	v_mul_hi_u32 v10, s0, v1
	v_mul_lo_u32 v12, s1, v1
	v_mul_lo_u32 v11, s0, v1
	v_add_u32_e32 v7, v10, v7
	v_add_u32_e32 v7, v7, v12
	v_mul_hi_u32 v10, v1, v11
	v_mul_lo_u32 v12, v1, v7
	v_mul_hi_u32 v14, v1, v7
	v_mul_hi_u32 v13, v3, v11
	v_mul_lo_u32 v11, v3, v11
	v_mul_hi_u32 v15, v3, v7
	v_add_co_u32_e32 v10, vcc, v10, v12
	v_addc_co_u32_e32 v12, vcc, 0, v14, vcc
	v_mul_lo_u32 v7, v3, v7
	v_add_co_u32_e32 v10, vcc, v10, v11
	v_addc_co_u32_e32 v10, vcc, v12, v13, vcc
	v_addc_co_u32_e32 v11, vcc, 0, v15, vcc
	v_add_co_u32_e32 v7, vcc, v10, v7
	v_addc_co_u32_e32 v10, vcc, 0, v11, vcc
	v_add_co_u32_e32 v1, vcc, v1, v7
	v_addc_co_u32_e32 v3, vcc, v3, v10, vcc
	v_mul_lo_u32 v7, s0, v3
	v_mul_hi_u32 v10, s0, v1
	v_mul_lo_u32 v11, s1, v1
	v_mul_lo_u32 v12, s0, v1
	v_add_u32_e32 v7, v10, v7
	v_add_u32_e32 v7, v7, v11
	v_mul_lo_u32 v13, v1, v7
	v_mul_hi_u32 v14, v1, v12
	v_mul_hi_u32 v15, v1, v7
	;; [unrolled: 1-line block ×3, first 2 shown]
	v_mul_lo_u32 v12, v3, v12
	v_mul_hi_u32 v10, v3, v7
	v_add_co_u32_e32 v13, vcc, v14, v13
	v_addc_co_u32_e32 v14, vcc, 0, v15, vcc
	v_mul_lo_u32 v7, v3, v7
	v_add_co_u32_e32 v12, vcc, v13, v12
	v_addc_co_u32_e32 v11, vcc, v14, v11, vcc
	v_addc_co_u32_e32 v10, vcc, 0, v10, vcc
	v_add_co_u32_e32 v7, vcc, v11, v7
	v_addc_co_u32_e32 v10, vcc, 0, v10, vcc
	v_add_co_u32_e32 v1, vcc, v1, v7
	v_addc_co_u32_e32 v3, vcc, v3, v10, vcc
	v_mad_u64_u32 v[10:11], s[0:1], v8, v3, 0
	v_mul_hi_u32 v7, v8, v1
	v_mad_u64_u32 v[12:13], s[0:1], v9, v3, 0
	v_add_co_u32_e32 v7, vcc, v7, v10
	v_addc_co_u32_e32 v14, vcc, 0, v11, vcc
	v_mad_u64_u32 v[10:11], s[0:1], v9, v1, 0
	v_add_co_u32_e32 v1, vcc, v7, v10
	v_addc_co_u32_e32 v1, vcc, v14, v11, vcc
	v_addc_co_u32_e32 v3, vcc, 0, v13, vcc
	v_add_co_u32_e32 v1, vcc, v1, v12
	v_addc_co_u32_e32 v3, vcc, 0, v3, vcc
	v_mul_lo_u32 v7, s21, v1
	v_mul_lo_u32 v12, s20, v3
	v_mad_u64_u32 v[10:11], s[0:1], s20, v1, 0
	v_add3_u32 v7, v11, v12, v7
	v_sub_u32_e32 v11, v9, v7
	v_mov_b32_e32 v12, s21
	v_sub_co_u32_e32 v10, vcc, v8, v10
	v_subb_co_u32_e64 v11, s[0:1], v11, v12, vcc
	v_subrev_co_u32_e64 v12, s[0:1], s20, v10
	v_subbrev_co_u32_e64 v11, s[0:1], 0, v11, s[0:1]
	v_cmp_le_u32_e64 s[0:1], s21, v11
	v_cndmask_b32_e64 v13, 0, -1, s[0:1]
	v_cmp_le_u32_e64 s[0:1], s20, v12
	v_cndmask_b32_e64 v12, 0, -1, s[0:1]
	v_cmp_eq_u32_e64 s[0:1], s21, v11
	v_cndmask_b32_e64 v11, v13, v12, s[0:1]
	v_add_co_u32_e64 v12, s[0:1], 2, v1
	v_addc_co_u32_e64 v13, s[0:1], 0, v3, s[0:1]
	v_add_co_u32_e64 v14, s[0:1], 1, v1
	v_addc_co_u32_e64 v15, s[0:1], 0, v3, s[0:1]
	v_subb_co_u32_e32 v7, vcc, v9, v7, vcc
	v_cmp_ne_u32_e64 s[0:1], 0, v11
	v_cmp_le_u32_e32 vcc, s21, v7
	v_cndmask_b32_e64 v11, v15, v13, s[0:1]
	v_cndmask_b32_e64 v13, 0, -1, vcc
	v_cmp_le_u32_e32 vcc, s20, v10
	v_cndmask_b32_e64 v10, 0, -1, vcc
	v_cmp_eq_u32_e32 vcc, s21, v7
	v_cndmask_b32_e32 v7, v13, v10, vcc
	v_cmp_ne_u32_e32 vcc, 0, v7
	v_cndmask_b32_e32 v11, v3, v11, vcc
	v_cndmask_b32_e64 v3, v14, v12, s[0:1]
	v_cndmask_b32_e32 v10, v1, v3, vcc
.LBB0_4:                                ;   in Loop: Header=BB0_2 Depth=1
	s_andn2_saveexec_b64 s[0:1], s[22:23]
	s_cbranch_execz .LBB0_6
; %bb.5:                                ;   in Loop: Header=BB0_2 Depth=1
	v_cvt_f32_u32_e32 v1, s20
	s_sub_i32 s22, 0, s20
	v_mov_b32_e32 v11, v6
	v_rcp_iflag_f32_e32 v1, v1
	v_mul_f32_e32 v1, 0x4f7ffffe, v1
	v_cvt_u32_f32_e32 v1, v1
	v_mul_lo_u32 v3, s22, v1
	v_mul_hi_u32 v3, v1, v3
	v_add_u32_e32 v1, v1, v3
	v_mul_hi_u32 v1, v8, v1
	v_mul_lo_u32 v3, v1, s20
	v_add_u32_e32 v7, 1, v1
	v_sub_u32_e32 v3, v8, v3
	v_subrev_u32_e32 v10, s20, v3
	v_cmp_le_u32_e32 vcc, s20, v3
	v_cndmask_b32_e32 v3, v3, v10, vcc
	v_cndmask_b32_e32 v1, v1, v7, vcc
	v_add_u32_e32 v7, 1, v1
	v_cmp_le_u32_e32 vcc, s20, v3
	v_cndmask_b32_e32 v10, v1, v7, vcc
.LBB0_6:                                ;   in Loop: Header=BB0_2 Depth=1
	s_or_b64 exec, exec, s[0:1]
	v_mul_lo_u32 v1, v11, s20
	v_mul_lo_u32 v3, v10, s21
	v_mad_u64_u32 v[12:13], s[0:1], v10, s20, 0
	s_load_dwordx2 s[0:1], s[6:7], 0x0
	s_add_u32 s16, s16, 1
	v_add3_u32 v1, v13, v3, v1
	v_sub_co_u32_e32 v3, vcc, v8, v12
	v_subb_co_u32_e32 v1, vcc, v9, v1, vcc
	s_waitcnt lgkmcnt(0)
	v_mul_lo_u32 v1, s0, v1
	v_mul_lo_u32 v7, s1, v3
	v_mad_u64_u32 v[4:5], s[0:1], s0, v3, v[4:5]
	s_addc_u32 s17, s17, 0
	s_add_u32 s6, s6, 8
	v_add3_u32 v5, v7, v5, v1
	v_mov_b32_e32 v7, s10
	v_mov_b32_e32 v8, s11
	s_addc_u32 s7, s7, 0
	v_cmp_ge_u64_e32 vcc, s[16:17], v[7:8]
	s_add_u32 s18, s18, 8
	s_addc_u32 s19, s19, 0
	s_cbranch_vccnz .LBB0_8
; %bb.7:                                ;   in Loop: Header=BB0_2 Depth=1
	v_mov_b32_e32 v8, v10
	v_mov_b32_e32 v9, v11
	s_branch .LBB0_2
.LBB0_8:
	s_lshl_b64 s[0:1], s[10:11], 3
	s_add_u32 s0, s14, s0
	s_addc_u32 s1, s15, s1
	s_load_dwordx2 s[6:7], s[0:1], 0x0
	s_load_dwordx2 s[10:11], s[4:5], 0x20
                                        ; implicit-def: $vgpr40
                                        ; implicit-def: $vgpr41
                                        ; implicit-def: $vgpr42
                                        ; implicit-def: $vgpr43
	s_waitcnt lgkmcnt(0)
	v_mad_u64_u32 v[3:4], s[0:1], s6, v10, v[4:5]
	s_mov_b32 s0, 0x1c71c71d
	v_mul_lo_u32 v1, s6, v11
	v_mul_lo_u32 v6, s7, v10
	v_mul_hi_u32 v5, v0, s0
	v_cmp_gt_u64_e32 vcc, s[10:11], v[10:11]
	v_cmp_le_u64_e64 s[0:1], s[10:11], v[10:11]
	v_add3_u32 v4, v6, v4, v1
	v_mul_u32_u24_e32 v1, 9, v5
	v_sub_u32_e32 v36, v0, v1
	v_add_u32_e32 v37, 9, v36
	v_add_u32_e32 v35, 18, v36
	;; [unrolled: 1-line block ×4, first 2 shown]
	s_and_saveexec_b64 s[4:5], s[0:1]
	s_xor_b64 s[0:1], exec, s[4:5]
; %bb.9:
	v_add_u32_e32 v40, 9, v36
	v_add_u32_e32 v41, 18, v36
	;; [unrolled: 1-line block ×4, first 2 shown]
; %bb.10:
	s_or_saveexec_b64 s[4:5], s[0:1]
	v_lshlrev_b64 v[0:1], 3, v[3:4]
	v_add_u32_e32 v38, 54, v36
	v_add_u32_e32 v39, 45, v36
                                        ; implicit-def: $vgpr10
                                        ; implicit-def: $vgpr8
                                        ; implicit-def: $vgpr14
                                        ; implicit-def: $vgpr12
                                        ; implicit-def: $vgpr4
                                        ; implicit-def: $vgpr16
                                        ; implicit-def: $vgpr18
                                        ; implicit-def: $vgpr22
                                        ; implicit-def: $vgpr20
                                        ; implicit-def: $vgpr6
                                        ; implicit-def: $vgpr24
                                        ; implicit-def: $vgpr26
                                        ; implicit-def: $vgpr28
                                        ; implicit-def: $vgpr30
                                        ; implicit-def: $vgpr32
	s_xor_b64 exec, exec, s[4:5]
	s_cbranch_execz .LBB0_12
; %bb.11:
	v_mad_u64_u32 v[3:4], s[0:1], s2, v36, 0
	v_mov_b32_e32 v7, s13
	v_mad_u64_u32 v[4:5], s[0:1], s3, v36, v[4:5]
	v_mad_u64_u32 v[5:6], s[0:1], s2, v34, 0
	v_add_co_u32_e64 v11, s[0:1], s12, v0
	v_addc_co_u32_e64 v12, s[0:1], v7, v1, s[0:1]
	v_mad_u64_u32 v[6:7], s[0:1], s3, v34, v[6:7]
	v_mad_u64_u32 v[7:8], s[0:1], s2, v38, 0
	v_lshlrev_b64 v[3:4], 3, v[3:4]
	v_add_co_u32_e64 v40, s[0:1], v11, v3
	v_addc_co_u32_e64 v41, s[0:1], v12, v4, s[0:1]
	v_lshlrev_b64 v[3:4], 3, v[5:6]
	v_mov_b32_e32 v5, v8
	v_mad_u64_u32 v[5:6], s[0:1], s3, v38, v[5:6]
	v_add_u32_e32 v6, 0x51, v36
	v_mad_u64_u32 v[9:10], s[0:1], s2, v6, 0
	v_add_co_u32_e64 v42, s[0:1], v11, v3
	v_mov_b32_e32 v8, v5
	v_mov_b32_e32 v5, v10
	v_addc_co_u32_e64 v43, s[0:1], v12, v4, s[0:1]
	v_lshlrev_b64 v[3:4], 3, v[7:8]
	v_mad_u64_u32 v[5:6], s[0:1], s3, v6, v[5:6]
	v_add_u32_e32 v8, 0x6c, v36
	v_mad_u64_u32 v[6:7], s[0:1], s2, v8, 0
	v_add_co_u32_e64 v44, s[0:1], v11, v3
	v_mov_b32_e32 v10, v5
	v_mov_b32_e32 v5, v7
	v_addc_co_u32_e64 v45, s[0:1], v12, v4, s[0:1]
	v_mad_u64_u32 v[7:8], s[0:1], s3, v8, v[5:6]
	v_lshlrev_b64 v[3:4], 3, v[9:10]
	v_mad_u64_u32 v[8:9], s[0:1], s2, v37, 0
	v_add_co_u32_e64 v46, s[0:1], v11, v3
	v_mov_b32_e32 v5, v9
	v_addc_co_u32_e64 v47, s[0:1], v12, v4, s[0:1]
	v_lshlrev_b64 v[3:4], 3, v[6:7]
	v_mad_u64_u32 v[5:6], s[0:1], s3, v37, v[5:6]
	v_mad_u64_u32 v[6:7], s[0:1], s2, v33, 0
	v_add_co_u32_e64 v48, s[0:1], v11, v3
	v_mov_b32_e32 v9, v5
	v_mov_b32_e32 v5, v7
	v_addc_co_u32_e64 v49, s[0:1], v12, v4, s[0:1]
	v_lshlrev_b64 v[3:4], 3, v[8:9]
	v_mad_u64_u32 v[7:8], s[0:1], s3, v33, v[5:6]
	v_add_u32_e32 v10, 63, v36
	v_mad_u64_u32 v[8:9], s[0:1], s2, v10, 0
	v_add_co_u32_e64 v50, s[0:1], v11, v3
	v_mov_b32_e32 v5, v9
	v_addc_co_u32_e64 v51, s[0:1], v12, v4, s[0:1]
	v_lshlrev_b64 v[3:4], 3, v[6:7]
	v_mad_u64_u32 v[5:6], s[0:1], s3, v10, v[5:6]
	v_add_u32_e32 v10, 0x5a, v36
	v_mad_u64_u32 v[6:7], s[0:1], s2, v10, 0
	v_add_co_u32_e64 v52, s[0:1], v11, v3
	v_mov_b32_e32 v9, v5
	v_mov_b32_e32 v5, v7
	v_addc_co_u32_e64 v53, s[0:1], v12, v4, s[0:1]
	v_lshlrev_b64 v[3:4], 3, v[8:9]
	v_mad_u64_u32 v[7:8], s[0:1], s3, v10, v[5:6]
	v_add_u32_e32 v10, 0x75, v36
	v_mad_u64_u32 v[8:9], s[0:1], s2, v10, 0
	v_add_co_u32_e64 v54, s[0:1], v11, v3
	v_mov_b32_e32 v5, v9
	v_addc_co_u32_e64 v55, s[0:1], v12, v4, s[0:1]
	v_lshlrev_b64 v[3:4], 3, v[6:7]
	v_mad_u64_u32 v[5:6], s[0:1], s3, v10, v[5:6]
	v_mad_u64_u32 v[6:7], s[0:1], s2, v35, 0
	v_add_co_u32_e64 v56, s[0:1], v11, v3
	v_mov_b32_e32 v9, v5
	v_mov_b32_e32 v5, v7
	v_addc_co_u32_e64 v57, s[0:1], v12, v4, s[0:1]
	v_lshlrev_b64 v[3:4], 3, v[8:9]
	v_mad_u64_u32 v[7:8], s[0:1], s3, v35, v[5:6]
	v_mad_u64_u32 v[8:9], s[0:1], s2, v39, 0
	v_add_co_u32_e64 v58, s[0:1], v11, v3
	v_mov_b32_e32 v5, v9
	v_addc_co_u32_e64 v59, s[0:1], v12, v4, s[0:1]
	v_lshlrev_b64 v[3:4], 3, v[6:7]
	v_mad_u64_u32 v[5:6], s[0:1], s3, v39, v[5:6]
	v_add_u32_e32 v10, 0x48, v36
	v_mad_u64_u32 v[6:7], s[0:1], s2, v10, 0
	v_add_co_u32_e64 v60, s[0:1], v11, v3
	v_mov_b32_e32 v9, v5
	v_mov_b32_e32 v5, v7
	v_addc_co_u32_e64 v61, s[0:1], v12, v4, s[0:1]
	v_lshlrev_b64 v[3:4], 3, v[8:9]
	v_mad_u64_u32 v[7:8], s[0:1], s3, v10, v[5:6]
	v_add_u32_e32 v10, 0x63, v36
	v_mad_u64_u32 v[8:9], s[0:1], s2, v10, 0
	v_add_co_u32_e64 v62, s[0:1], v11, v3
	v_mov_b32_e32 v5, v9
	v_addc_co_u32_e64 v63, s[0:1], v12, v4, s[0:1]
	v_lshlrev_b64 v[3:4], 3, v[6:7]
	v_mad_u64_u32 v[5:6], s[0:1], s3, v10, v[5:6]
	v_add_u32_e32 v10, 0x7e, v36
	v_mad_u64_u32 v[6:7], s[0:1], s2, v10, 0
	v_add_co_u32_e64 v64, s[0:1], v11, v3
	v_mov_b32_e32 v9, v5
	v_mov_b32_e32 v5, v7
	v_addc_co_u32_e64 v65, s[0:1], v12, v4, s[0:1]
	v_lshlrev_b64 v[3:4], 3, v[8:9]
	v_mad_u64_u32 v[7:8], s[0:1], s3, v10, v[5:6]
	v_add_co_u32_e64 v66, s[0:1], v11, v3
	v_addc_co_u32_e64 v67, s[0:1], v12, v4, s[0:1]
	v_lshlrev_b64 v[3:4], 3, v[6:7]
	v_add_co_u32_e64 v68, s[0:1], v11, v3
	v_addc_co_u32_e64 v69, s[0:1], v12, v4, s[0:1]
	global_load_dwordx2 v[31:32], v[40:41], off
	global_load_dwordx2 v[29:30], v[42:43], off
	global_load_dwordx2 v[27:28], v[44:45], off
	global_load_dwordx2 v[25:26], v[46:47], off
	global_load_dwordx2 v[23:24], v[48:49], off
	global_load_dwordx2 v[5:6], v[50:51], off
	global_load_dwordx2 v[19:20], v[52:53], off
	global_load_dwordx2 v[21:22], v[54:55], off
	global_load_dwordx2 v[17:18], v[56:57], off
	global_load_dwordx2 v[15:16], v[58:59], off
	global_load_dwordx2 v[3:4], v[60:61], off
	global_load_dwordx2 v[11:12], v[62:63], off
	global_load_dwordx2 v[13:14], v[64:65], off
	global_load_dwordx2 v[7:8], v[66:67], off
	global_load_dwordx2 v[9:10], v[68:69], off
	v_mov_b32_e32 v43, v33
	v_mov_b32_e32 v42, v34
	;; [unrolled: 1-line block ×4, first 2 shown]
.LBB0_12:
	s_or_b64 exec, exec, s[4:5]
	v_lshrrev_b32_e32 v44, 1, v2
	s_mov_b32 s0, 0x92492493
	v_mul_hi_u32 v44, v44, s0
	s_waitcnt vmcnt(13)
	v_add_f32_e32 v45, v29, v31
	s_waitcnt vmcnt(11)
	v_add_f32_e32 v46, v25, v27
	v_add_f32_e32 v45, v27, v45
	v_lshrrev_b32_e32 v44, 2, v44
	v_mul_lo_u32 v44, v44, 14
	v_add_f32_e32 v45, v25, v45
	s_waitcnt vmcnt(10)
	v_add_f32_e32 v47, v23, v45
	v_sub_f32_e32 v45, v30, v24
	v_sub_u32_e32 v2, v2, v44
	v_fma_f32 v44, -0.5, v46, v31
	v_mov_b32_e32 v48, v44
	v_fmac_f32_e32 v48, 0x3f737871, v45
	v_sub_f32_e32 v46, v28, v26
	v_sub_f32_e32 v49, v29, v27
	;; [unrolled: 1-line block ×3, first 2 shown]
	v_fmac_f32_e32 v44, 0xbf737871, v45
	v_fmac_f32_e32 v48, 0x3f167918, v46
	v_add_f32_e32 v49, v50, v49
	v_fmac_f32_e32 v44, 0xbf167918, v46
	v_fmac_f32_e32 v48, 0x3e9e377a, v49
	;; [unrolled: 1-line block ×3, first 2 shown]
	v_add_f32_e32 v49, v23, v29
	v_fmac_f32_e32 v31, -0.5, v49
	v_mov_b32_e32 v49, v31
	v_mul_u32_u24_e32 v2, 0x87, v2
	v_fmac_f32_e32 v49, 0xbf737871, v46
	v_sub_f32_e32 v50, v27, v29
	v_sub_f32_e32 v51, v25, v23
	v_fmac_f32_e32 v31, 0x3f737871, v46
	v_fmac_f32_e32 v49, 0x3f167918, v45
	v_add_f32_e32 v50, v51, v50
	v_fmac_f32_e32 v31, 0xbf167918, v45
	s_waitcnt vmcnt(6)
	v_add_f32_e32 v45, v17, v21
	v_lshlrev_b32_e32 v46, 2, v2
	v_fmac_f32_e32 v49, 0x3e9e377a, v50
	v_fmac_f32_e32 v31, 0x3e9e377a, v50
	v_fma_f32 v50, -0.5, v45, v5
	v_add_u32_e32 v45, 0, v46
	v_mad_u32_u24 v2, v36, 20, v45
	ds_write2_b32 v2, v47, v48 offset1:1
	v_sub_f32_e32 v47, v19, v21
	s_waitcnt vmcnt(5)
	v_sub_f32_e32 v48, v15, v17
	v_sub_f32_e32 v51, v20, v16
	v_add_f32_e32 v47, v48, v47
	v_mov_b32_e32 v48, v50
	v_fmac_f32_e32 v48, 0x3f737871, v51
	v_sub_f32_e32 v52, v22, v18
	v_fmac_f32_e32 v50, 0xbf737871, v51
	v_fmac_f32_e32 v48, 0x3f167918, v52
	;; [unrolled: 1-line block ×5, first 2 shown]
	v_add_f32_e32 v47, v19, v5
	v_add_f32_e32 v53, v15, v19
	;; [unrolled: 1-line block ×3, first 2 shown]
	v_fmac_f32_e32 v5, -0.5, v53
	v_sub_f32_e32 v53, v21, v19
	v_sub_f32_e32 v54, v17, v15
	v_add_f32_e32 v47, v17, v47
	v_add_f32_e32 v53, v54, v53
	v_mov_b32_e32 v54, v5
	v_add_f32_e32 v47, v15, v47
	ds_write2_b32 v2, v49, v31 offset0:2 offset1:3
	v_mad_i32_i24 v49, v40, 20, v45
	v_fmac_f32_e32 v54, 0xbf737871, v52
	v_fmac_f32_e32 v5, 0x3f737871, v52
	ds_write_b32 v2, v44 offset:16
	ds_write2_b32 v49, v47, v48 offset1:1
	s_waitcnt vmcnt(2)
	v_sub_f32_e32 v44, v11, v13
	s_waitcnt vmcnt(0)
	v_sub_f32_e32 v47, v9, v7
	v_fmac_f32_e32 v54, 0x3f167918, v51
	v_fmac_f32_e32 v5, 0xbf167918, v51
	v_add_f32_e32 v44, v47, v44
	v_add_f32_e32 v47, v7, v13
	v_sub_f32_e32 v65, v29, v23
	v_add_f32_e32 v23, v9, v11
	v_fmac_f32_e32 v54, 0x3e9e377a, v53
	v_fmac_f32_e32 v5, 0x3e9e377a, v53
	v_add_f32_e32 v31, v11, v3
	v_fma_f32 v47, -0.5, v47, v3
	v_sub_f32_e32 v63, v27, v25
	v_fmac_f32_e32 v3, -0.5, v23
	v_sub_f32_e32 v23, v13, v11
	v_sub_f32_e32 v25, v7, v9
	ds_write2_b32 v49, v54, v5 offset0:2 offset1:3
	v_sub_f32_e32 v5, v12, v10
	ds_write_b32 v49, v50 offset:16
	v_mov_b32_e32 v48, v47
	v_sub_f32_e32 v50, v14, v8
	v_add_f32_e32 v23, v25, v23
	v_mov_b32_e32 v25, v3
	v_add_f32_e32 v31, v13, v31
	v_fmac_f32_e32 v48, 0x3f737871, v5
	v_fmac_f32_e32 v25, 0xbf737871, v50
	;; [unrolled: 1-line block ×3, first 2 shown]
	v_add_f32_e32 v31, v7, v31
	v_fmac_f32_e32 v48, 0x3f167918, v50
	v_add_f32_e32 v62, v30, v32
	v_fmac_f32_e32 v47, 0xbf737871, v5
	v_fmac_f32_e32 v25, 0x3f167918, v5
	;; [unrolled: 1-line block ×3, first 2 shown]
	v_add_f32_e32 v31, v9, v31
	v_fmac_f32_e32 v48, 0x3e9e377a, v44
	v_mad_i32_i24 v61, v41, 20, v45
	v_fmac_f32_e32 v47, 0xbf167918, v50
	v_fmac_f32_e32 v25, 0x3e9e377a, v23
	;; [unrolled: 1-line block ×3, first 2 shown]
	v_add_f32_e32 v5, v28, v62
	ds_write2_b32 v61, v31, v48 offset1:1
	v_add_f32_e32 v31, v26, v28
	v_fmac_f32_e32 v47, 0x3e9e377a, v44
	ds_write2_b32 v61, v25, v3 offset0:2 offset1:3
	ds_write_b32 v61, v47 offset:16
	v_lshlrev_b32_e32 v3, 2, v36
	v_add_f32_e32 v5, v26, v5
	v_fma_f32 v48, -0.5, v31, v32
	v_add_f32_e32 v31, v24, v30
	v_sub_f32_e32 v51, v26, v24
	v_add_u32_e32 v23, v45, v3
	v_add3_u32 v25, 0, v3, v46
	v_lshlrev_b32_e32 v3, 4, v40
	v_sub_f32_e32 v26, v24, v26
	v_add_f32_e32 v5, v24, v5
	v_add_f32_e32 v24, v20, v6
	v_sub_u32_e32 v27, v49, v3
	v_lshlrev_b32_e32 v3, 4, v41
	v_add_f32_e32 v24, v22, v24
	v_fmac_f32_e32 v32, -0.5, v31
	v_sub_f32_e32 v31, v28, v30
	v_sub_u32_e32 v29, v61, v3
	v_sub_f32_e32 v3, v30, v28
	v_add_f32_e32 v28, v18, v22
	v_sub_f32_e32 v17, v21, v17
	v_sub_f32_e32 v21, v20, v22
	;; [unrolled: 1-line block ×4, first 2 shown]
	v_add_f32_e32 v19, v16, v20
	v_add_f32_e32 v20, v18, v24
	v_sub_f32_e32 v24, v16, v18
	v_sub_f32_e32 v18, v18, v16
	v_add_f32_e32 v16, v16, v20
	v_add_f32_e32 v20, v12, v4
	;; [unrolled: 1-line block ×4, first 2 shown]
	v_sub_f32_e32 v7, v13, v7
	v_sub_f32_e32 v13, v12, v14
	;; [unrolled: 1-line block ×4, first 2 shown]
	v_add_f32_e32 v11, v10, v12
	v_add_f32_e32 v12, v8, v20
	v_sub_f32_e32 v20, v10, v8
	v_sub_f32_e32 v8, v8, v10
	v_add_f32_e32 v10, v10, v12
	v_mov_b32_e32 v12, v48
	v_mov_b32_e32 v64, v32
	v_fmac_f32_e32 v12, 0xbf737871, v65
	v_fmac_f32_e32 v64, 0x3f737871, v63
	;; [unrolled: 1-line block ×3, first 2 shown]
	v_add_f32_e32 v3, v26, v3
	v_fmac_f32_e32 v12, 0xbf167918, v63
	v_add_f32_e32 v31, v51, v31
	v_fmac_f32_e32 v64, 0xbf167918, v65
	v_fmac_f32_e32 v32, 0x3f167918, v65
	;; [unrolled: 1-line block ×5, first 2 shown]
	s_waitcnt lgkmcnt(0)
	s_barrier
	v_lshl_add_u32 v31, v42, 2, v45
	v_lshl_add_u32 v44, v43, 2, v45
	ds_read_b32 v66, v23
	ds_read_b32 v67, v27
	;; [unrolled: 1-line block ×5, first 2 shown]
	ds_read2_b32 v[51:52], v25 offset0:81 offset1:90
	ds_read2_b32 v[53:54], v25 offset0:45 offset1:54
	;; [unrolled: 1-line block ×5, first 2 shown]
	s_waitcnt lgkmcnt(0)
	s_barrier
	ds_write2_b32 v2, v5, v12 offset1:1
	v_fma_f32 v5, -0.5, v28, v6
	v_fmac_f32_e32 v48, 0x3f737871, v65
	v_mov_b32_e32 v12, v5
	v_fmac_f32_e32 v48, 0x3f167918, v63
	v_fmac_f32_e32 v12, 0xbf737871, v15
	;; [unrolled: 1-line block ×4, first 2 shown]
	v_add_f32_e32 v3, v24, v21
	v_fmac_f32_e32 v12, 0xbf167918, v17
	v_fmac_f32_e32 v5, 0x3f167918, v17
	v_fmac_f32_e32 v6, -0.5, v19
	v_fmac_f32_e32 v12, 0x3e9e377a, v3
	v_fmac_f32_e32 v5, 0x3e9e377a, v3
	v_add_f32_e32 v3, v18, v22
	v_mov_b32_e32 v18, v6
	v_fmac_f32_e32 v18, 0x3f737871, v17
	v_fmac_f32_e32 v6, 0xbf737871, v17
	;; [unrolled: 1-line block ×6, first 2 shown]
	v_add_f32_e32 v3, v20, v13
	v_fma_f32 v13, -0.5, v30, v4
	v_mov_b32_e32 v15, v13
	v_fmac_f32_e32 v15, 0xbf737871, v9
	v_fmac_f32_e32 v13, 0x3f737871, v9
	;; [unrolled: 1-line block ×4, first 2 shown]
	v_fmac_f32_e32 v4, -0.5, v11
	v_fmac_f32_e32 v15, 0x3e9e377a, v3
	v_fmac_f32_e32 v13, 0x3e9e377a, v3
	v_add_f32_e32 v3, v8, v14
	v_mov_b32_e32 v8, v4
	v_fmac_f32_e32 v8, 0x3f737871, v7
	v_fmac_f32_e32 v4, 0xbf737871, v7
	v_fmac_f32_e32 v8, 0xbf167918, v9
	v_fmac_f32_e32 v4, 0x3f167918, v9
	ds_write2_b32 v2, v64, v32 offset0:2 offset1:3
	v_fmac_f32_e32 v8, 0x3e9e377a, v3
	v_fmac_f32_e32 v4, 0x3e9e377a, v3
	ds_write_b32 v2, v48 offset:16
	ds_write2_b32 v49, v16, v12 offset1:1
	ds_write2_b32 v49, v18, v6 offset0:2 offset1:3
	ds_write_b32 v49, v5 offset:16
	ds_write2_b32 v61, v10, v15 offset1:1
	ds_write2_b32 v61, v8, v4 offset0:2 offset1:3
	ds_write_b32 v61, v13 offset:16
	v_add_u32_e32 v2, -5, v36
	v_cmp_gt_u32_e64 s[0:1], 5, v36
	v_cndmask_b32_e64 v22, v2, v36, s[0:1]
	v_lshlrev_b32_e32 v2, 1, v22
	v_mov_b32_e32 v3, 0
	v_lshlrev_b64 v[4:5], 3, v[2:3]
	v_mov_b32_e32 v24, s9
	v_add_co_u32_e64 v4, s[0:1], s8, v4
	v_addc_co_u32_e64 v5, s[0:1], v24, v5, s[0:1]
	s_waitcnt lgkmcnt(0)
	s_barrier
	global_load_dwordx4 v[4:7], v[4:5], off
	s_movk_i32 s0, 0xcd
	v_mul_lo_u16_sdwa v2, v40, s0 dst_sel:DWORD dst_unused:UNUSED_PAD src0_sel:BYTE_0 src1_sel:DWORD
	v_lshrrev_b16_e32 v2, 10, v2
	v_mul_lo_u16_e32 v8, 5, v2
	v_sub_u16_e32 v26, v40, v8
	v_mov_b32_e32 v28, 4
	v_lshlrev_b32_sdwa v8, v28, v26 dst_sel:DWORD dst_unused:UNUSED_PAD src0_sel:DWORD src1_sel:BYTE_0
	global_load_dwordx4 v[8:11], v8, s[8:9]
	v_mul_lo_u16_sdwa v12, v41, s0 dst_sel:DWORD dst_unused:UNUSED_PAD src0_sel:BYTE_0 src1_sel:DWORD
	v_lshrrev_b16_e32 v30, 10, v12
	v_mul_lo_u16_e32 v12, 5, v30
	v_sub_u16_e32 v32, v41, v12
	v_lshlrev_b32_sdwa v12, v28, v32 dst_sel:DWORD dst_unused:UNUSED_PAD src0_sel:DWORD src1_sel:BYTE_0
	global_load_dwordx4 v[12:15], v12, s[8:9]
	v_mul_lo_u16_sdwa v16, v42, s0 dst_sel:DWORD dst_unused:UNUSED_PAD src0_sel:BYTE_0 src1_sel:DWORD
	v_lshrrev_b16_e32 v63, 10, v16
	v_mul_lo_u16_sdwa v20, v43, s0 dst_sel:DWORD dst_unused:UNUSED_PAD src0_sel:BYTE_0 src1_sel:DWORD
	v_mul_lo_u16_e32 v16, 5, v63
	v_lshrrev_b16_e32 v65, 10, v20
	v_sub_u16_e32 v64, v42, v16
	v_mul_lo_u16_e32 v20, 5, v65
	v_lshlrev_b32_sdwa v16, v28, v64 dst_sel:DWORD dst_unused:UNUSED_PAD src0_sel:DWORD src1_sel:BYTE_0
	v_sub_u16_e32 v71, v43, v20
	global_load_dwordx4 v[16:19], v16, s[8:9]
	v_lshlrev_b32_sdwa v20, v28, v71 dst_sel:DWORD dst_unused:UNUSED_PAD src0_sel:DWORD src1_sel:BYTE_0
	global_load_dwordx4 v[47:50], v20, s[8:9]
	ds_read2_b32 v[20:21], v25 offset0:45 offset1:54
	ds_read2_b32 v[61:62], v25 offset0:81 offset1:90
	v_cmp_lt_u32_e64 s[0:1], 4, v36
	v_lshlrev_b32_e32 v22, 2, v22
	v_mad_u32_u24 v2, v2, 60, 0
	s_waitcnt vmcnt(4) lgkmcnt(1)
	v_mul_f32_e32 v72, v20, v5
	v_fma_f32 v72, v53, v4, -v72
	v_mul_f32_e32 v53, v53, v5
	v_fmac_f32_e32 v53, v20, v4
	s_waitcnt lgkmcnt(0)
	v_mul_f32_e32 v4, v62, v7
	v_fma_f32 v20, v52, v6, -v4
	ds_read2_b32 v[4:5], v25 offset0:99 offset1:108
	v_mul_f32_e32 v52, v52, v7
	v_fmac_f32_e32 v52, v62, v6
	s_waitcnt vmcnt(3)
	v_mul_f32_e32 v6, v21, v9
	v_fma_f32 v62, v54, v8, -v6
	v_mul_f32_e32 v9, v54, v9
	s_waitcnt lgkmcnt(0)
	v_mul_f32_e32 v6, v4, v11
	v_fmac_f32_e32 v9, v21, v8
	v_fma_f32 v8, v55, v10, -v6
	ds_read2_b32 v[6:7], v25 offset0:63 offset1:72
	v_mul_f32_e32 v11, v55, v11
	v_fmac_f32_e32 v11, v4, v10
	s_waitcnt vmcnt(2)
	v_mul_f32_e32 v4, v5, v15
	v_fma_f32 v10, v56, v14, -v4
	v_mul_f32_e32 v15, v56, v15
	s_waitcnt lgkmcnt(0)
	v_mul_f32_e32 v4, v6, v13
	v_fmac_f32_e32 v15, v5, v14
	v_fma_f32 v14, v57, v12, -v4
	ds_read2_b32 v[4:5], v25 offset0:117 offset1:126
	v_mul_f32_e32 v13, v57, v13
	v_fmac_f32_e32 v13, v6, v12
	s_waitcnt vmcnt(1)
	v_mul_f32_e32 v6, v7, v17
	v_mul_f32_e32 v12, v58, v17
	v_fma_f32 v6, v58, v16, -v6
	v_fmac_f32_e32 v12, v7, v16
	s_waitcnt lgkmcnt(0)
	v_mul_f32_e32 v7, v4, v19
	v_mul_f32_e32 v16, v59, v19
	s_waitcnt vmcnt(0)
	v_mul_f32_e32 v19, v60, v50
	v_add_f32_e32 v21, v72, v20
	v_fma_f32 v7, v59, v18, -v7
	v_fmac_f32_e32 v16, v4, v18
	v_mul_f32_e32 v18, v5, v50
	v_fmac_f32_e32 v19, v5, v49
	v_add_f32_e32 v5, v66, v72
	v_fmac_f32_e32 v66, -0.5, v21
	v_cndmask_b32_e64 v21, 0, 60, s[0:1]
	v_mul_f32_e32 v4, v61, v48
	v_mul_f32_e32 v17, v51, v48
	v_add_u32_e32 v21, 0, v21
	v_fma_f32 v4, v51, v47, -v4
	v_fmac_f32_e32 v17, v61, v47
	v_add3_u32 v21, v21, v22, v46
	v_sub_f32_e32 v22, v53, v52
	v_mov_b32_e32 v47, v66
	v_add_f32_e32 v5, v5, v20
	v_fmac_f32_e32 v47, 0x3f5db3d7, v22
	v_fmac_f32_e32 v66, 0xbf5db3d7, v22
	v_add_f32_e32 v22, v62, v8
	v_fma_f32 v18, v60, v49, -v18
	ds_read_b32 v48, v23
	ds_read_b32 v49, v27
	;; [unrolled: 1-line block ×5, first 2 shown]
	s_waitcnt lgkmcnt(0)
	s_barrier
	ds_write2_b32 v21, v5, v47 offset1:5
	v_add_f32_e32 v5, v67, v62
	v_fmac_f32_e32 v67, -0.5, v22
	v_mov_b32_e32 v22, 2
	v_lshlrev_b32_sdwa v26, v22, v26 dst_sel:DWORD dst_unused:UNUSED_PAD src0_sel:DWORD src1_sel:BYTE_0
	v_add3_u32 v2, v2, v26, v46
	v_sub_f32_e32 v26, v9, v11
	v_mov_b32_e32 v47, v67
	v_add_f32_e32 v5, v5, v8
	v_fmac_f32_e32 v47, 0x3f5db3d7, v26
	v_fmac_f32_e32 v67, 0xbf5db3d7, v26
	v_add_f32_e32 v26, v14, v10
	ds_write_b32 v21, v66 offset:40
	ds_write2_b32 v2, v5, v47 offset1:5
	v_add_f32_e32 v5, v68, v14
	v_fmac_f32_e32 v68, -0.5, v26
	v_mad_u32_u24 v26, v30, 60, 0
	v_lshlrev_b32_sdwa v30, v22, v32 dst_sel:DWORD dst_unused:UNUSED_PAD src0_sel:DWORD src1_sel:BYTE_0
	v_add3_u32 v26, v26, v30, v46
	v_sub_f32_e32 v30, v13, v15
	v_mov_b32_e32 v32, v68
	v_add_f32_e32 v5, v5, v10
	v_fmac_f32_e32 v32, 0x3f5db3d7, v30
	v_fmac_f32_e32 v68, 0xbf5db3d7, v30
	v_add_f32_e32 v30, v6, v7
	ds_write_b32 v2, v67 offset:40
	ds_write2_b32 v26, v5, v32 offset1:5
	v_add_f32_e32 v5, v69, v6
	v_fmac_f32_e32 v69, -0.5, v30
	v_mad_u32_u24 v30, v63, 60, 0
	;; [unrolled: 13-line block ×3, first 2 shown]
	v_lshlrev_b32_sdwa v47, v22, v71 dst_sel:DWORD dst_unused:UNUSED_PAD src0_sel:DWORD src1_sel:BYTE_0
	v_add3_u32 v32, v32, v47, v46
	v_sub_f32_e32 v47, v17, v19
	v_mov_b32_e32 v51, v70
	v_add_f32_e32 v5, v5, v18
	v_fmac_f32_e32 v51, 0x3f5db3d7, v47
	ds_write_b32 v30, v69 offset:40
	ds_write2_b32 v32, v5, v51 offset1:5
	v_add_f32_e32 v51, v53, v52
	v_add_f32_e32 v5, v48, v53
	v_fmac_f32_e32 v48, -0.5, v51
	v_sub_f32_e32 v20, v72, v20
	v_fmac_f32_e32 v70, 0xbf5db3d7, v47
	v_mov_b32_e32 v47, v48
	v_add_f32_e32 v5, v5, v52
	v_fmac_f32_e32 v47, 0xbf5db3d7, v20
	ds_write_b32 v32, v70 offset:40
	s_waitcnt lgkmcnt(0)
	s_barrier
	ds_read_b32 v65, v23
	ds_read_b32 v66, v27
	;; [unrolled: 1-line block ×5, first 2 shown]
	ds_read2_b32 v[51:52], v25 offset0:81 offset1:90
	ds_read2_b32 v[53:54], v25 offset0:45 offset1:54
	ds_read2_b32 v[55:56], v25 offset0:99 offset1:108
	ds_read2_b32 v[57:58], v25 offset0:63 offset1:72
	ds_read2_b32 v[59:60], v25 offset0:117 offset1:126
	s_waitcnt lgkmcnt(0)
	s_barrier
	ds_write2_b32 v21, v5, v47 offset1:5
	v_add_f32_e32 v5, v49, v9
	v_add_f32_e32 v9, v9, v11
	v_fmac_f32_e32 v49, -0.5, v9
	v_sub_f32_e32 v8, v62, v8
	v_mov_b32_e32 v9, v49
	v_fmac_f32_e32 v48, 0x3f5db3d7, v20
	v_add_f32_e32 v5, v5, v11
	v_fmac_f32_e32 v9, 0xbf5db3d7, v8
	ds_write_b32 v21, v48 offset:40
	ds_write2_b32 v2, v5, v9 offset1:5
	v_fmac_f32_e32 v49, 0x3f5db3d7, v8
	v_add_f32_e32 v5, v13, v15
	ds_write_b32 v2, v49 offset:40
	v_add_f32_e32 v2, v50, v13
	v_fmac_f32_e32 v50, -0.5, v5
	v_sub_f32_e32 v5, v14, v10
	v_mov_b32_e32 v8, v50
	v_add_f32_e32 v2, v2, v15
	v_fmac_f32_e32 v8, 0xbf5db3d7, v5
	v_fmac_f32_e32 v50, 0x3f5db3d7, v5
	v_add_f32_e32 v5, v12, v16
	ds_write2_b32 v26, v2, v8 offset1:5
	v_add_f32_e32 v2, v61, v12
	v_fmac_f32_e32 v61, -0.5, v5
	v_sub_f32_e32 v5, v6, v7
	v_mov_b32_e32 v6, v61
	v_add_f32_e32 v7, v17, v19
	v_fmac_f32_e32 v6, 0xbf5db3d7, v5
	v_fmac_f32_e32 v61, 0x3f5db3d7, v5
	v_add_f32_e32 v5, v73, v17
	v_fmac_f32_e32 v73, -0.5, v7
	v_add_f32_e32 v2, v2, v16
	v_sub_f32_e32 v4, v4, v18
	v_mov_b32_e32 v7, v73
	v_add_f32_e32 v5, v5, v19
	v_fmac_f32_e32 v7, 0xbf5db3d7, v4
	v_fmac_f32_e32 v73, 0x3f5db3d7, v4
	ds_write_b32 v26, v50 offset:40
	ds_write2_b32 v30, v2, v6 offset1:5
	ds_write_b32 v30, v61 offset:40
	ds_write2_b32 v32, v5, v7 offset1:5
	ds_write_b32 v32, v73 offset:40
	v_lshlrev_b32_e32 v2, 1, v36
	v_lshlrev_b64 v[4:5], 3, v[2:3]
	v_add_u32_e32 v10, -6, v36
	v_add_co_u32_e64 v4, s[0:1], s8, v4
	v_addc_co_u32_e64 v5, s[0:1], v24, v5, s[0:1]
	v_cmp_gt_u32_e64 s[0:1], 6, v36
	s_waitcnt lgkmcnt(0)
	s_barrier
	global_load_dwordx4 v[6:9], v[4:5], off offset:80
	v_cndmask_b32_e64 v26, v10, v40, s[0:1]
	v_lshlrev_b32_e32 v10, 1, v26
	v_mov_b32_e32 v11, v3
	v_lshlrev_b64 v[10:11], 3, v[10:11]
	v_add_u32_e32 v2, 6, v2
	v_add_co_u32_e64 v10, s[0:1], s8, v10
	v_addc_co_u32_e64 v11, s[0:1], v24, v11, s[0:1]
	global_load_dwordx4 v[10:13], v[10:11], off offset:80
	v_lshlrev_b64 v[14:15], 3, v[2:3]
	v_add_co_u32_e64 v14, s[0:1], s8, v14
	v_addc_co_u32_e64 v15, s[0:1], v24, v15, s[0:1]
	s_movk_i32 s0, 0x89
	v_mul_lo_u16_sdwa v2, v42, s0 dst_sel:DWORD dst_unused:UNUSED_PAD src0_sel:BYTE_0 src1_sel:DWORD
	v_lshrrev_b16_e32 v2, 11, v2
	global_load_dwordx4 v[14:17], v[14:15], off offset:80
	v_mul_lo_u16_e32 v18, 15, v2
	v_sub_u16_e32 v24, v42, v18
	v_lshlrev_b32_sdwa v18, v28, v24 dst_sel:DWORD dst_unused:UNUSED_PAD src0_sel:DWORD src1_sel:BYTE_0
	v_mul_lo_u16_sdwa v28, v43, s0 dst_sel:DWORD dst_unused:UNUSED_PAD src0_sel:BYTE_0 src1_sel:DWORD
	v_lshrrev_b16_e32 v28, 11, v28
	v_mul_lo_u16_e32 v28, 15, v28
	v_sub_u16_e32 v28, v43, v28
	global_load_dwordx4 v[18:21], v18, s[8:9] offset:80
	v_and_b32_e32 v28, 0xff, v28
	v_lshlrev_b32_e32 v30, 4, v28
	global_load_dwordx4 v[47:50], v30, s[8:9] offset:80
	ds_read2_b32 v[61:62], v25 offset0:45 offset1:54
	ds_read2_b32 v[63:64], v25 offset0:81 offset1:90
	v_cmp_lt_u32_e64 s[0:1], 5, v36
	s_waitcnt vmcnt(4) lgkmcnt(1)
	v_mul_f32_e32 v30, v61, v7
	v_mul_f32_e32 v32, v53, v7
	v_fma_f32 v30, v53, v6, -v30
	v_fmac_f32_e32 v32, v61, v6
	s_waitcnt lgkmcnt(0)
	v_mul_f32_e32 v6, v64, v9
	v_fma_f32 v53, v52, v8, -v6
	ds_read2_b32 v[6:7], v25 offset0:99 offset1:108
	v_mul_f32_e32 v52, v52, v9
	v_fmac_f32_e32 v52, v64, v8
	s_waitcnt vmcnt(3)
	v_mul_f32_e32 v8, v62, v11
	v_fma_f32 v61, v54, v10, -v8
	v_mul_f32_e32 v54, v54, v11
	s_waitcnt lgkmcnt(0)
	v_mul_f32_e32 v8, v6, v13
	v_fmac_f32_e32 v54, v62, v10
	v_fma_f32 v62, v55, v12, -v8
	ds_read2_b32 v[8:9], v25 offset0:63 offset1:72
	v_mul_f32_e32 v55, v55, v13
	v_fmac_f32_e32 v55, v6, v12
	s_waitcnt vmcnt(2)
	v_mul_f32_e32 v6, v7, v17
	v_fma_f32 v64, v56, v16, -v6
	v_mul_f32_e32 v56, v56, v17
	s_waitcnt lgkmcnt(0)
	v_mul_f32_e32 v6, v8, v15
	v_fmac_f32_e32 v56, v7, v16
	v_fma_f32 v70, v57, v14, -v6
	ds_read2_b32 v[6:7], v25 offset0:117 offset1:126
	v_mul_f32_e32 v57, v57, v15
	v_fmac_f32_e32 v57, v8, v14
	s_waitcnt vmcnt(1)
	v_mul_f32_e32 v8, v9, v19
	v_fma_f32 v71, v58, v18, -v8
	s_waitcnt lgkmcnt(0)
	v_mul_f32_e32 v8, v6, v21
	v_mul_f32_e32 v21, v59, v21
	v_fmac_f32_e32 v21, v6, v20
	s_waitcnt vmcnt(0)
	v_mul_f32_e32 v6, v63, v48
	v_fma_f32 v72, v59, v20, -v8
	v_fma_f32 v59, v51, v47, -v6
	v_mul_f32_e32 v6, v7, v50
	v_mul_f32_e32 v50, v60, v50
	;; [unrolled: 1-line block ×3, first 2 shown]
	v_fmac_f32_e32 v50, v7, v49
	v_add_f32_e32 v7, v30, v53
	v_fmac_f32_e32 v48, v63, v47
	v_fma_f32 v47, v60, v49, -v6
	v_add_f32_e32 v6, v65, v30
	v_fmac_f32_e32 v65, -0.5, v7
	v_sub_f32_e32 v7, v32, v52
	v_mov_b32_e32 v8, v65
	v_add_f32_e32 v6, v6, v53
	v_fmac_f32_e32 v8, 0x3f5db3d7, v7
	v_fmac_f32_e32 v65, 0xbf5db3d7, v7
	v_add_f32_e32 v7, v61, v62
	ds_read_b32 v49, v23
	ds_read_b32 v51, v27
	ds_read_b32 v60, v29
	ds_read_b32 v63, v31
	ds_read_b32 v73, v44
	s_waitcnt lgkmcnt(0)
	s_barrier
	ds_write2_b32 v25, v6, v8 offset1:15
	v_add_f32_e32 v6, v66, v61
	v_fmac_f32_e32 v66, -0.5, v7
	v_mov_b32_e32 v7, 0xb4
	v_cndmask_b32_e64 v7, 0, v7, s[0:1]
	v_add_u32_e32 v7, 0, v7
	v_lshlrev_b32_e32 v8, 2, v26
	v_add3_u32 v26, v7, v8, v46
	v_sub_f32_e32 v7, v54, v55
	v_mov_b32_e32 v8, v66
	v_add_f32_e32 v6, v6, v62
	v_fmac_f32_e32 v8, 0x3f5db3d7, v7
	v_fmac_f32_e32 v66, 0xbf5db3d7, v7
	v_add_f32_e32 v7, v70, v64
	ds_write_b32 v25, v65 offset:120
	ds_write2_b32 v26, v6, v8 offset1:15
	v_add_f32_e32 v6, v67, v70
	v_fmac_f32_e32 v67, -0.5, v7
	v_sub_f32_e32 v7, v57, v56
	v_mov_b32_e32 v8, v67
	v_add_f32_e32 v6, v6, v64
	v_fmac_f32_e32 v8, 0x3f5db3d7, v7
	s_movk_i32 s0, 0xb4
	v_mul_f32_e32 v58, v58, v19
	ds_write_b32 v26, v66 offset:120
	ds_write2_b32 v25, v6, v8 offset0:48 offset1:63
	v_lshlrev_b32_sdwa v6, v22, v24 dst_sel:DWORD dst_unused:UNUSED_PAD src0_sel:DWORD src1_sel:BYTE_0
	v_mad_u32_u24 v2, v2, s0, 0
	v_fmac_f32_e32 v67, 0xbf5db3d7, v7
	v_add_f32_e32 v7, v71, v72
	v_fmac_f32_e32 v58, v9, v18
	v_add3_u32 v2, v2, v6, v46
	v_add_f32_e32 v6, v68, v71
	v_fmac_f32_e32 v68, -0.5, v7
	v_sub_f32_e32 v7, v58, v21
	v_mov_b32_e32 v8, v68
	v_add_f32_e32 v6, v6, v72
	v_fmac_f32_e32 v8, 0x3f5db3d7, v7
	v_fmac_f32_e32 v68, 0xbf5db3d7, v7
	v_add_f32_e32 v7, v59, v47
	ds_write_b32 v25, v67 offset:312
	ds_write2_b32 v2, v6, v8 offset1:15
	v_add_f32_e32 v6, v69, v59
	v_fmac_f32_e32 v69, -0.5, v7
	v_sub_f32_e32 v7, v48, v50
	v_mov_b32_e32 v8, v69
	v_lshl_add_u32 v22, v28, 2, v45
	v_add_f32_e32 v6, v6, v47
	v_fmac_f32_e32 v8, 0x3f5db3d7, v7
	ds_write_b32 v2, v68 offset:120
	ds_write2_b32 v22, v6, v8 offset0:90 offset1:105
	v_add_f32_e32 v6, v49, v32
	v_add_f32_e32 v24, v6, v52
	;; [unrolled: 1-line block ×3, first 2 shown]
	v_fmac_f32_e32 v49, -0.5, v6
	v_fmac_f32_e32 v69, 0xbf5db3d7, v7
	v_sub_f32_e32 v28, v30, v53
	v_mov_b32_e32 v30, v49
	ds_write_b32 v22, v69 offset:480
	s_waitcnt lgkmcnt(0)
	s_barrier
	ds_read_b32 v16, v23
	ds_read_b32 v17, v27
	;; [unrolled: 1-line block ×5, first 2 shown]
	ds_read2_b32 v[8:9], v25 offset0:45 offset1:54
	ds_read2_b32 v[6:7], v25 offset0:81 offset1:90
	;; [unrolled: 1-line block ×5, first 2 shown]
	v_fmac_f32_e32 v30, 0xbf5db3d7, v28
	v_fmac_f32_e32 v49, 0x3f5db3d7, v28
	v_add_f32_e32 v28, v54, v55
	s_waitcnt lgkmcnt(0)
	s_barrier
	ds_write2_b32 v25, v24, v30 offset1:15
	v_add_f32_e32 v24, v51, v54
	v_fmac_f32_e32 v51, -0.5, v28
	v_sub_f32_e32 v28, v61, v62
	v_mov_b32_e32 v30, v51
	v_add_f32_e32 v24, v24, v55
	v_fmac_f32_e32 v30, 0xbf5db3d7, v28
	v_fmac_f32_e32 v51, 0x3f5db3d7, v28
	v_add_f32_e32 v28, v57, v56
	ds_write_b32 v25, v49 offset:120
	ds_write2_b32 v26, v24, v30 offset1:15
	v_add_f32_e32 v24, v60, v57
	v_fmac_f32_e32 v60, -0.5, v28
	v_sub_f32_e32 v28, v70, v64
	v_mov_b32_e32 v30, v60
	v_fmac_f32_e32 v30, 0xbf5db3d7, v28
	v_fmac_f32_e32 v60, 0x3f5db3d7, v28
	v_add_f32_e32 v28, v63, v58
	v_add_f32_e32 v28, v28, v21
	;; [unrolled: 1-line block ×3, first 2 shown]
	v_fmac_f32_e32 v63, -0.5, v21
	v_sub_f32_e32 v21, v71, v72
	v_mov_b32_e32 v32, v63
	v_add_f32_e32 v45, v48, v50
	v_fmac_f32_e32 v32, 0xbf5db3d7, v21
	v_fmac_f32_e32 v63, 0x3f5db3d7, v21
	v_add_f32_e32 v21, v73, v48
	v_fmac_f32_e32 v73, -0.5, v45
	v_sub_f32_e32 v45, v59, v47
	v_mov_b32_e32 v46, v73
	v_add_f32_e32 v24, v24, v56
	v_add_f32_e32 v21, v21, v50
	v_fmac_f32_e32 v46, 0xbf5db3d7, v45
	v_fmac_f32_e32 v73, 0x3f5db3d7, v45
	ds_write_b32 v26, v51 offset:120
	ds_write2_b32 v25, v24, v30 offset0:48 offset1:63
	ds_write_b32 v25, v60 offset:312
	ds_write2_b32 v2, v28, v32 offset1:15
	ds_write_b32 v2, v63 offset:120
	ds_write2_b32 v22, v21, v46 offset0:90 offset1:105
	ds_write_b32 v22, v73 offset:480
	s_waitcnt lgkmcnt(0)
	s_barrier
	s_and_saveexec_b64 s[0:1], vcc
	s_cbranch_execz .LBB0_14
; %bb.13:
	v_lshlrev_b32_e32 v2, 1, v43
	v_lshlrev_b64 v[21:22], 3, v[2:3]
	v_mov_b32_e32 v24, s9
	v_add_co_u32_e32 v21, vcc, s8, v21
	v_addc_co_u32_e32 v22, vcc, v24, v22, vcc
	v_lshlrev_b32_e32 v2, 1, v42
	global_load_dwordx4 v[45:48], v[21:22], off offset:320
	v_lshlrev_b64 v[21:22], 3, v[2:3]
	v_lshlrev_b32_e32 v2, 1, v41
	v_add_co_u32_e32 v21, vcc, s8, v21
	v_addc_co_u32_e32 v22, vcc, v24, v22, vcc
	global_load_dwordx4 v[49:52], v[21:22], off offset:320
	v_lshlrev_b64 v[21:22], 3, v[2:3]
	v_lshlrev_b32_e32 v2, 1, v40
	v_add_co_u32_e32 v21, vcc, s8, v21
	v_addc_co_u32_e32 v22, vcc, v24, v22, vcc
	global_load_dwordx4 v[53:56], v[21:22], off offset:320
	v_lshlrev_b64 v[2:3], 3, v[2:3]
	ds_read2_b32 v[21:22], v25 offset0:81 offset1:90
	ds_read2_b32 v[57:58], v25 offset0:117 offset1:126
	;; [unrolled: 1-line block ×3, first 2 shown]
	v_add_co_u32_e32 v2, vcc, s8, v2
	v_addc_co_u32_e32 v3, vcc, v24, v3, vcc
	global_load_dwordx4 v[40:43], v[2:3], off offset:320
	ds_read_b32 v32, v44
	ds_read_b32 v31, v31
	global_load_dwordx4 v[2:5], v[4:5], off offset:320
	ds_read2_b32 v[61:62], v25 offset0:99 offset1:108
	s_mov_b32 s5, 0x6c16c16d
	s_movk_i32 s4, 0x5a
	ds_read_b32 v23, v23
	s_waitcnt vmcnt(4) lgkmcnt(6)
	v_mul_f32_e32 v24, v21, v46
	s_waitcnt lgkmcnt(5)
	v_mul_f32_e32 v26, v58, v48
	v_mul_f32_e32 v28, v6, v46
	;; [unrolled: 1-line block ×3, first 2 shown]
	v_fma_f32 v6, v6, v45, -v24
	v_fma_f32 v15, v15, v47, -v26
	v_fmac_f32_e32 v28, v45, v21
	s_waitcnt vmcnt(3)
	v_mul_f32_e32 v26, v13, v50
	v_mul_f32_e32 v44, v14, v52
	v_fmac_f32_e32 v30, v47, v58
	s_waitcnt lgkmcnt(4)
	v_mul_f32_e32 v21, v60, v50
	v_mul_f32_e32 v24, v57, v52
	v_sub_f32_e32 v46, v6, v15
	v_add_f32_e32 v48, v6, v15
	v_add_f32_e32 v6, v20, v6
	v_fmac_f32_e32 v26, v49, v60
	v_fmac_f32_e32 v44, v51, v57
	v_add_f32_e32 v45, v28, v30
	s_waitcnt lgkmcnt(3)
	v_add_f32_e32 v47, v28, v32
	v_sub_f32_e32 v50, v28, v30
	v_fma_f32 v28, v13, v49, -v21
	v_fma_f32 v24, v14, v51, -v24
	v_fma_f32 v13, -0.5, v48, v20
	v_add_f32_e32 v20, v6, v15
	v_add_f32_e32 v15, v26, v44
	v_fma_f32 v14, -0.5, v45, v32
	ds_read_b32 v32, v29
	v_add_f32_e32 v21, v30, v47
	s_waitcnt lgkmcnt(3)
	v_add_f32_e32 v30, v26, v31
	v_add_f32_e32 v47, v28, v24
	v_fma_f32 v31, -0.5, v15, v31
	v_sub_f32_e32 v6, v28, v24
	v_add_f32_e32 v45, v44, v30
	v_fma_f32 v30, -0.5, v47, v19
	v_mov_b32_e32 v47, v31
	s_waitcnt vmcnt(2)
	v_mul_f32_e32 v52, v12, v54
	v_fmac_f32_e32 v31, 0xbf5db3d7, v6
	v_fmac_f32_e32 v47, 0x3f5db3d7, v6
	v_mul_f32_e32 v6, v11, v56
	s_waitcnt lgkmcnt(2)
	v_mul_f32_e32 v51, v62, v56
	v_fmac_f32_e32 v52, v53, v59
	v_fmac_f32_e32 v6, v55, v62
	v_mul_f32_e32 v49, v59, v54
	v_add_f32_e32 v48, v19, v28
	v_fma_f32 v51, v11, v55, -v51
	v_add_f32_e32 v11, v52, v6
	v_sub_f32_e32 v26, v26, v44
	v_fma_f32 v49, v12, v53, -v49
	v_add_f32_e32 v44, v48, v24
	ds_read_b32 v48, v27
	s_waitcnt lgkmcnt(1)
	v_fma_f32 v12, -0.5, v11, v32
	v_add_f32_e32 v11, v52, v32
	ds_read2_b32 v[24:25], v25 offset0:45 offset1:54
	v_mov_b32_e32 v29, v14
	v_add_f32_e32 v19, v6, v11
	v_add_f32_e32 v11, v49, v51
	v_fmac_f32_e32 v14, 0xbf5db3d7, v46
	v_fmac_f32_e32 v29, 0x3f5db3d7, v46
	v_mov_b32_e32 v46, v30
	v_fma_f32 v11, -0.5, v11, v18
	v_fmac_f32_e32 v30, 0x3f5db3d7, v26
	v_fmac_f32_e32 v46, 0xbf5db3d7, v26
	v_sub_f32_e32 v6, v52, v6
	v_mov_b32_e32 v26, v11
	v_sub_f32_e32 v15, v49, v51
	v_fmac_f32_e32 v26, 0xbf5db3d7, v6
	v_fmac_f32_e32 v11, 0x3f5db3d7, v6
	v_add_f32_e32 v6, v18, v49
	s_waitcnt vmcnt(1)
	v_mul_f32_e32 v49, v9, v41
	v_add_f32_e32 v18, v6, v51
	s_waitcnt lgkmcnt(0)
	v_mul_f32_e32 v6, v25, v41
	v_fmac_f32_e32 v49, v40, v25
	v_mul_f32_e32 v25, v10, v43
	v_mov_b32_e32 v27, v12
	v_fmac_f32_e32 v25, v42, v61
	v_fmac_f32_e32 v27, 0x3f5db3d7, v15
	v_fmac_f32_e32 v12, 0xbf5db3d7, v15
	v_fma_f32 v6, v9, v40, -v6
	v_mul_f32_e32 v15, v61, v43
	v_add_f32_e32 v9, v49, v25
	v_fma_f32 v15, v10, v42, -v15
	v_fma_f32 v10, -0.5, v9, v48
	v_add_f32_e32 v9, v49, v48
	v_sub_f32_e32 v32, v6, v15
	v_add_f32_e32 v43, v25, v9
	v_add_f32_e32 v9, v6, v15
	;; [unrolled: 1-line block ×4, first 2 shown]
	s_waitcnt vmcnt(0)
	v_mul_f32_e32 v6, v24, v3
	v_fma_f32 v15, v8, v2, -v6
	v_mul_f32_e32 v8, v8, v3
	v_fmac_f32_e32 v8, v2, v24
	v_mul_f32_e32 v24, v7, v5
	v_fmac_f32_e32 v24, v4, v22
	v_add_f32_e32 v2, v8, v24
	v_mul_f32_e32 v6, v22, v5
	v_fma_f32 v3, -0.5, v2, v23
	v_add_f32_e32 v2, v8, v23
	v_mad_u64_u32 v[22:23], s[0:1], s2, v36, 0
	v_fma_f32 v9, -0.5, v9, v17
	v_fma_f32 v17, v7, v4, -v6
	v_sub_f32_e32 v6, v15, v17
	v_mov_b32_e32 v5, v3
	v_fmac_f32_e32 v5, 0x3f5db3d7, v6
	v_fmac_f32_e32 v3, 0xbf5db3d7, v6
	v_add_f32_e32 v7, v24, v2
	v_add_f32_e32 v2, v15, v17
	v_mov_b32_e32 v6, v23
	v_fma_f32 v2, -0.5, v2, v16
	v_sub_f32_e32 v8, v8, v24
	v_mad_u64_u32 v[23:24], s[0:1], s3, v36, v[6:7]
	v_add_f32_e32 v6, v16, v15
	v_mad_u64_u32 v[15:16], s[0:1], s2, v39, 0
	v_mov_b32_e32 v4, v2
	v_sub_f32_e32 v25, v49, v25
	v_mov_b32_e32 v40, v9
	v_fmac_f32_e32 v4, 0xbf5db3d7, v8
	v_fmac_f32_e32 v2, 0x3f5db3d7, v8
	v_mov_b32_e32 v8, s13
	v_add_co_u32_e32 v24, vcc, s12, v0
	v_fmac_f32_e32 v40, 0xbf5db3d7, v25
	v_fmac_f32_e32 v9, 0x3f5db3d7, v25
	v_addc_co_u32_e32 v25, vcc, v8, v1, vcc
	v_mov_b32_e32 v8, v16
	v_add_f32_e32 v6, v6, v17
	v_lshlrev_b64 v[0:1], 3, v[22:23]
	v_mad_u64_u32 v[16:17], s[0:1], s3, v39, v[8:9]
	v_add_co_u32_e32 v0, vcc, v24, v0
	v_add_u32_e32 v8, 0x5a, v36
	v_addc_co_u32_e32 v1, vcc, v25, v1, vcc
	v_mad_u64_u32 v[22:23], s[0:1], s2, v8, 0
	global_store_dwordx2 v[0:1], v[6:7], off
	v_lshlrev_b64 v[0:1], 3, v[15:16]
	v_mov_b32_e32 v6, v23
	v_add_co_u32_e32 v0, vcc, v24, v0
	v_addc_co_u32_e32 v1, vcc, v25, v1, vcc
	v_mad_u64_u32 v[6:7], s[0:1], s3, v8, v[6:7]
	global_store_dwordx2 v[0:1], v[2:3], off
	v_mad_u64_u32 v[2:3], s[0:1], s2, v37, 0
	v_mov_b32_e32 v23, v6
	v_lshlrev_b64 v[0:1], 3, v[22:23]
	v_mad_u64_u32 v[6:7], s[0:1], s3, v37, v[3:4]
	v_mad_u64_u32 v[7:8], s[0:1], s2, v38, 0
	v_add_co_u32_e32 v0, vcc, v24, v0
	v_addc_co_u32_e32 v1, vcc, v25, v1, vcc
	v_mov_b32_e32 v3, v6
	global_store_dwordx2 v[0:1], v[4:5], off
	v_lshlrev_b64 v[0:1], 3, v[2:3]
	v_mov_b32_e32 v2, v8
	v_mad_u64_u32 v[2:3], s[0:1], s3, v38, v[2:3]
	v_add_u32_e32 v4, 0x63, v36
	v_mul_hi_u32 v5, v35, s5
	v_mov_b32_e32 v8, v2
	v_mad_u64_u32 v[2:3], s[0:1], s2, v4, 0
	v_add_co_u32_e32 v0, vcc, v24, v0
	v_mad_u64_u32 v[3:4], s[0:1], s3, v4, v[3:4]
	v_sub_u32_e32 v4, v35, v5
	v_lshrrev_b32_e32 v4, 1, v4
	v_add_u32_e32 v4, v4, v5
	v_lshrrev_b32_e32 v4, 5, v4
	v_addc_co_u32_e32 v1, vcc, v25, v1, vcc
	v_mad_u32_u24 v6, v4, s4, v35
	global_store_dwordx2 v[0:1], v[42:43], off
	v_lshlrev_b64 v[0:1], 3, v[7:8]
	v_mad_u64_u32 v[4:5], s[0:1], s2, v6, 0
	v_add_co_u32_e32 v0, vcc, v24, v0
	v_mov_b32_e32 v41, v10
	v_fmac_f32_e32 v10, 0xbf5db3d7, v32
	v_addc_co_u32_e32 v1, vcc, v25, v1, vcc
	global_store_dwordx2 v[0:1], v[9:10], off
	v_lshlrev_b64 v[0:1], 3, v[2:3]
	v_mov_b32_e32 v2, v5
	v_mad_u64_u32 v[2:3], s[0:1], s3, v6, v[2:3]
	v_add_co_u32_e32 v0, vcc, v24, v0
	v_fmac_f32_e32 v41, 0x3f5db3d7, v32
	v_addc_co_u32_e32 v1, vcc, v25, v1, vcc
	v_mov_b32_e32 v5, v2
	global_store_dwordx2 v[0:1], v[40:41], off
	v_lshlrev_b64 v[0:1], 3, v[4:5]
	v_add_u32_e32 v4, 45, v6
	v_mad_u64_u32 v[2:3], s[0:1], s2, v4, 0
	v_add_u32_e32 v6, 0x5a, v6
	v_add_co_u32_e32 v0, vcc, v24, v0
	v_mad_u64_u32 v[3:4], s[0:1], s3, v4, v[3:4]
	v_mad_u64_u32 v[4:5], s[0:1], s2, v6, 0
	v_addc_co_u32_e32 v1, vcc, v25, v1, vcc
	global_store_dwordx2 v[0:1], v[18:19], off
	v_lshlrev_b64 v[0:1], 3, v[2:3]
	v_mov_b32_e32 v2, v5
	v_mad_u64_u32 v[2:3], s[0:1], s3, v6, v[2:3]
	v_mul_hi_u32 v3, v34, s5
	v_add_co_u32_e32 v0, vcc, v24, v0
	v_mov_b32_e32 v5, v2
	v_sub_u32_e32 v2, v34, v3
	v_lshrrev_b32_e32 v2, 1, v2
	v_add_u32_e32 v2, v2, v3
	v_lshrrev_b32_e32 v2, 5, v2
	v_mad_u32_u24 v6, v2, s4, v34
	v_mad_u64_u32 v[2:3], s[0:1], s2, v6, 0
	v_addc_co_u32_e32 v1, vcc, v25, v1, vcc
	global_store_dwordx2 v[0:1], v[11:12], off
	v_lshlrev_b64 v[0:1], 3, v[4:5]
	v_mad_u64_u32 v[3:4], s[0:1], s3, v6, v[3:4]
	v_add_u32_e32 v7, 45, v6
	v_mad_u64_u32 v[4:5], s[0:1], s2, v7, 0
	v_add_co_u32_e32 v0, vcc, v24, v0
	v_addc_co_u32_e32 v1, vcc, v25, v1, vcc
	global_store_dwordx2 v[0:1], v[26:27], off
	v_lshlrev_b64 v[0:1], 3, v[2:3]
	v_mov_b32_e32 v2, v5
	v_mad_u64_u32 v[2:3], s[0:1], s3, v7, v[2:3]
	v_add_co_u32_e32 v0, vcc, v24, v0
	v_addc_co_u32_e32 v1, vcc, v25, v1, vcc
	v_mov_b32_e32 v5, v2
	global_store_dwordx2 v[0:1], v[44:45], off
	v_lshlrev_b64 v[0:1], 3, v[4:5]
	v_add_u32_e32 v4, 0x5a, v6
	v_mad_u64_u32 v[2:3], s[0:1], s2, v4, 0
	v_mul_hi_u32 v5, v33, s5
	v_add_co_u32_e32 v0, vcc, v24, v0
	v_mad_u64_u32 v[3:4], s[0:1], s3, v4, v[3:4]
	v_sub_u32_e32 v4, v33, v5
	v_lshrrev_b32_e32 v4, 1, v4
	v_add_u32_e32 v4, v4, v5
	v_lshrrev_b32_e32 v4, 5, v4
	v_mad_u32_u24 v6, v4, s4, v33
	v_mad_u64_u32 v[4:5], s[0:1], s2, v6, 0
	v_addc_co_u32_e32 v1, vcc, v25, v1, vcc
	global_store_dwordx2 v[0:1], v[30:31], off
	v_lshlrev_b64 v[0:1], 3, v[2:3]
	v_mov_b32_e32 v2, v5
	v_mad_u64_u32 v[2:3], s[0:1], s3, v6, v[2:3]
	v_add_co_u32_e32 v0, vcc, v24, v0
	v_addc_co_u32_e32 v1, vcc, v25, v1, vcc
	v_mov_b32_e32 v5, v2
	global_store_dwordx2 v[0:1], v[46:47], off
	v_lshlrev_b64 v[0:1], 3, v[4:5]
	v_add_u32_e32 v4, 45, v6
	v_mad_u64_u32 v[2:3], s[0:1], s2, v4, 0
	v_add_u32_e32 v6, 0x5a, v6
	v_add_co_u32_e32 v0, vcc, v24, v0
	v_mad_u64_u32 v[3:4], s[0:1], s3, v4, v[3:4]
	v_mad_u64_u32 v[4:5], s[0:1], s2, v6, 0
	v_addc_co_u32_e32 v1, vcc, v25, v1, vcc
	global_store_dwordx2 v[0:1], v[20:21], off
	v_lshlrev_b64 v[0:1], 3, v[2:3]
	v_mov_b32_e32 v2, v5
	v_mad_u64_u32 v[2:3], s[0:1], s3, v6, v[2:3]
	v_add_co_u32_e32 v0, vcc, v24, v0
	v_mov_b32_e32 v28, v13
	v_fmac_f32_e32 v13, 0x3f5db3d7, v50
	v_addc_co_u32_e32 v1, vcc, v25, v1, vcc
	v_mov_b32_e32 v5, v2
	global_store_dwordx2 v[0:1], v[13:14], off
	v_lshlrev_b64 v[0:1], 3, v[4:5]
	v_fmac_f32_e32 v28, 0xbf5db3d7, v50
	v_add_co_u32_e32 v0, vcc, v24, v0
	v_addc_co_u32_e32 v1, vcc, v25, v1, vcc
	global_store_dwordx2 v[0:1], v[28:29], off
.LBB0_14:
	s_endpgm
	.section	.rodata,"a",@progbits
	.p2align	6, 0x0
	.amdhsa_kernel fft_rtc_fwd_len135_factors_5_3_3_3_wgs_126_tpt_9_halfLds_sp_ip_CI_sbrr_dirReg
		.amdhsa_group_segment_fixed_size 0
		.amdhsa_private_segment_fixed_size 0
		.amdhsa_kernarg_size 88
		.amdhsa_user_sgpr_count 6
		.amdhsa_user_sgpr_private_segment_buffer 1
		.amdhsa_user_sgpr_dispatch_ptr 0
		.amdhsa_user_sgpr_queue_ptr 0
		.amdhsa_user_sgpr_kernarg_segment_ptr 1
		.amdhsa_user_sgpr_dispatch_id 0
		.amdhsa_user_sgpr_flat_scratch_init 0
		.amdhsa_user_sgpr_private_segment_size 0
		.amdhsa_uses_dynamic_stack 0
		.amdhsa_system_sgpr_private_segment_wavefront_offset 0
		.amdhsa_system_sgpr_workgroup_id_x 1
		.amdhsa_system_sgpr_workgroup_id_y 0
		.amdhsa_system_sgpr_workgroup_id_z 0
		.amdhsa_system_sgpr_workgroup_info 0
		.amdhsa_system_vgpr_workitem_id 0
		.amdhsa_next_free_vgpr 74
		.amdhsa_next_free_sgpr 24
		.amdhsa_reserve_vcc 1
		.amdhsa_reserve_flat_scratch 0
		.amdhsa_float_round_mode_32 0
		.amdhsa_float_round_mode_16_64 0
		.amdhsa_float_denorm_mode_32 3
		.amdhsa_float_denorm_mode_16_64 3
		.amdhsa_dx10_clamp 1
		.amdhsa_ieee_mode 1
		.amdhsa_fp16_overflow 0
		.amdhsa_exception_fp_ieee_invalid_op 0
		.amdhsa_exception_fp_denorm_src 0
		.amdhsa_exception_fp_ieee_div_zero 0
		.amdhsa_exception_fp_ieee_overflow 0
		.amdhsa_exception_fp_ieee_underflow 0
		.amdhsa_exception_fp_ieee_inexact 0
		.amdhsa_exception_int_div_zero 0
	.end_amdhsa_kernel
	.text
.Lfunc_end0:
	.size	fft_rtc_fwd_len135_factors_5_3_3_3_wgs_126_tpt_9_halfLds_sp_ip_CI_sbrr_dirReg, .Lfunc_end0-fft_rtc_fwd_len135_factors_5_3_3_3_wgs_126_tpt_9_halfLds_sp_ip_CI_sbrr_dirReg
                                        ; -- End function
	.section	.AMDGPU.csdata,"",@progbits
; Kernel info:
; codeLenInByte = 7888
; NumSgprs: 28
; NumVgprs: 74
; ScratchSize: 0
; MemoryBound: 0
; FloatMode: 240
; IeeeMode: 1
; LDSByteSize: 0 bytes/workgroup (compile time only)
; SGPRBlocks: 3
; VGPRBlocks: 18
; NumSGPRsForWavesPerEU: 28
; NumVGPRsForWavesPerEU: 74
; Occupancy: 3
; WaveLimiterHint : 1
; COMPUTE_PGM_RSRC2:SCRATCH_EN: 0
; COMPUTE_PGM_RSRC2:USER_SGPR: 6
; COMPUTE_PGM_RSRC2:TRAP_HANDLER: 0
; COMPUTE_PGM_RSRC2:TGID_X_EN: 1
; COMPUTE_PGM_RSRC2:TGID_Y_EN: 0
; COMPUTE_PGM_RSRC2:TGID_Z_EN: 0
; COMPUTE_PGM_RSRC2:TIDIG_COMP_CNT: 0
	.type	__hip_cuid_4526b7f42cc143f8,@object ; @__hip_cuid_4526b7f42cc143f8
	.section	.bss,"aw",@nobits
	.globl	__hip_cuid_4526b7f42cc143f8
__hip_cuid_4526b7f42cc143f8:
	.byte	0                               ; 0x0
	.size	__hip_cuid_4526b7f42cc143f8, 1

	.ident	"AMD clang version 19.0.0git (https://github.com/RadeonOpenCompute/llvm-project roc-6.4.0 25133 c7fe45cf4b819c5991fe208aaa96edf142730f1d)"
	.section	".note.GNU-stack","",@progbits
	.addrsig
	.addrsig_sym __hip_cuid_4526b7f42cc143f8
	.amdgpu_metadata
---
amdhsa.kernels:
  - .args:
      - .actual_access:  read_only
        .address_space:  global
        .offset:         0
        .size:           8
        .value_kind:     global_buffer
      - .offset:         8
        .size:           8
        .value_kind:     by_value
      - .actual_access:  read_only
        .address_space:  global
        .offset:         16
        .size:           8
        .value_kind:     global_buffer
      - .actual_access:  read_only
        .address_space:  global
        .offset:         24
        .size:           8
        .value_kind:     global_buffer
      - .offset:         32
        .size:           8
        .value_kind:     by_value
      - .actual_access:  read_only
        .address_space:  global
        .offset:         40
        .size:           8
        .value_kind:     global_buffer
      - .actual_access:  read_only
        .address_space:  global
        .offset:         48
        .size:           8
        .value_kind:     global_buffer
      - .offset:         56
        .size:           4
        .value_kind:     by_value
      - .actual_access:  read_only
        .address_space:  global
        .offset:         64
        .size:           8
        .value_kind:     global_buffer
      - .actual_access:  read_only
        .address_space:  global
        .offset:         72
        .size:           8
        .value_kind:     global_buffer
      - .address_space:  global
        .offset:         80
        .size:           8
        .value_kind:     global_buffer
    .group_segment_fixed_size: 0
    .kernarg_segment_align: 8
    .kernarg_segment_size: 88
    .language:       OpenCL C
    .language_version:
      - 2
      - 0
    .max_flat_workgroup_size: 126
    .name:           fft_rtc_fwd_len135_factors_5_3_3_3_wgs_126_tpt_9_halfLds_sp_ip_CI_sbrr_dirReg
    .private_segment_fixed_size: 0
    .sgpr_count:     28
    .sgpr_spill_count: 0
    .symbol:         fft_rtc_fwd_len135_factors_5_3_3_3_wgs_126_tpt_9_halfLds_sp_ip_CI_sbrr_dirReg.kd
    .uniform_work_group_size: 1
    .uses_dynamic_stack: false
    .vgpr_count:     74
    .vgpr_spill_count: 0
    .wavefront_size: 64
amdhsa.target:   amdgcn-amd-amdhsa--gfx906
amdhsa.version:
  - 1
  - 2
...

	.end_amdgpu_metadata
